;; amdgpu-corpus repo=ROCm/rocFFT kind=compiled arch=gfx1100 opt=O3
	.text
	.amdgcn_target "amdgcn-amd-amdhsa--gfx1100"
	.amdhsa_code_object_version 6
	.protected	fft_rtc_fwd_len1024_factors_8_8_4_4_wgs_128_tpt_128_halfLds_half_op_CI_CI_unitstride_sbrr_C2R_dirReg ; -- Begin function fft_rtc_fwd_len1024_factors_8_8_4_4_wgs_128_tpt_128_halfLds_half_op_CI_CI_unitstride_sbrr_C2R_dirReg
	.globl	fft_rtc_fwd_len1024_factors_8_8_4_4_wgs_128_tpt_128_halfLds_half_op_CI_CI_unitstride_sbrr_C2R_dirReg
	.p2align	8
	.type	fft_rtc_fwd_len1024_factors_8_8_4_4_wgs_128_tpt_128_halfLds_half_op_CI_CI_unitstride_sbrr_C2R_dirReg,@function
fft_rtc_fwd_len1024_factors_8_8_4_4_wgs_128_tpt_128_halfLds_half_op_CI_CI_unitstride_sbrr_C2R_dirReg: ; @fft_rtc_fwd_len1024_factors_8_8_4_4_wgs_128_tpt_128_halfLds_half_op_CI_CI_unitstride_sbrr_C2R_dirReg
; %bb.0:
	s_clause 0x2
	s_load_b128 s[8:11], s[0:1], 0x0
	s_load_b128 s[4:7], s[0:1], 0x58
	;; [unrolled: 1-line block ×3, first 2 shown]
	v_mov_b32_e32 v8, 0
	v_mov_b32_e32 v6, 0
	v_dual_mov_b32 v7, 0 :: v_dual_mov_b32 v10, s15
	s_delay_alu instid0(VALU_DEP_3) | instskip(SKIP_2) | instid1(VALU_DEP_1)
	v_mov_b32_e32 v11, v8
	s_waitcnt lgkmcnt(0)
	v_cmp_lt_u64_e64 s2, s[10:11], 2
	s_and_b32 vcc_lo, exec_lo, s2
	s_cbranch_vccnz .LBB0_8
; %bb.1:
	s_load_b64 s[2:3], s[0:1], 0x10
	v_mov_b32_e32 v6, 0
	v_mov_b32_e32 v7, 0
	s_add_u32 s12, s18, 8
	s_addc_u32 s13, s19, 0
	s_add_u32 s14, s16, 8
	s_delay_alu instid0(VALU_DEP_1)
	v_dual_mov_b32 v1, v6 :: v_dual_mov_b32 v2, v7
	s_addc_u32 s15, s17, 0
	s_mov_b64 s[22:23], 1
	s_waitcnt lgkmcnt(0)
	s_add_u32 s20, s2, 8
	s_addc_u32 s21, s3, 0
.LBB0_2:                                ; =>This Inner Loop Header: Depth=1
	s_load_b64 s[24:25], s[20:21], 0x0
                                        ; implicit-def: $vgpr3_vgpr4
	s_mov_b32 s2, exec_lo
	s_waitcnt lgkmcnt(0)
	v_or_b32_e32 v9, s25, v11
	s_delay_alu instid0(VALU_DEP_1)
	v_cmpx_ne_u64_e32 0, v[8:9]
	s_xor_b32 s3, exec_lo, s2
	s_cbranch_execz .LBB0_4
; %bb.3:                                ;   in Loop: Header=BB0_2 Depth=1
	v_cvt_f32_u32_e32 v3, s24
	v_cvt_f32_u32_e32 v4, s25
	s_sub_u32 s2, 0, s24
	s_subb_u32 s26, 0, s25
	s_delay_alu instid0(VALU_DEP_1) | instskip(NEXT) | instid1(VALU_DEP_1)
	v_fmac_f32_e32 v3, 0x4f800000, v4
	v_rcp_f32_e32 v3, v3
	s_waitcnt_depctr 0xfff
	v_mul_f32_e32 v3, 0x5f7ffffc, v3
	s_delay_alu instid0(VALU_DEP_1) | instskip(NEXT) | instid1(VALU_DEP_1)
	v_mul_f32_e32 v4, 0x2f800000, v3
	v_trunc_f32_e32 v4, v4
	s_delay_alu instid0(VALU_DEP_1) | instskip(SKIP_1) | instid1(VALU_DEP_2)
	v_fmac_f32_e32 v3, 0xcf800000, v4
	v_cvt_u32_f32_e32 v4, v4
	v_cvt_u32_f32_e32 v3, v3
	s_delay_alu instid0(VALU_DEP_2) | instskip(NEXT) | instid1(VALU_DEP_2)
	v_mul_lo_u32 v5, s2, v4
	v_mul_hi_u32 v9, s2, v3
	v_mul_lo_u32 v12, s26, v3
	s_delay_alu instid0(VALU_DEP_2) | instskip(SKIP_1) | instid1(VALU_DEP_2)
	v_add_nc_u32_e32 v5, v9, v5
	v_mul_lo_u32 v9, s2, v3
	v_add_nc_u32_e32 v5, v5, v12
	s_delay_alu instid0(VALU_DEP_2) | instskip(NEXT) | instid1(VALU_DEP_2)
	v_mul_hi_u32 v12, v3, v9
	v_mul_lo_u32 v13, v3, v5
	v_mul_hi_u32 v14, v3, v5
	v_mul_hi_u32 v15, v4, v9
	v_mul_lo_u32 v9, v4, v9
	v_mul_hi_u32 v16, v4, v5
	v_mul_lo_u32 v5, v4, v5
	v_add_co_u32 v12, vcc_lo, v12, v13
	v_add_co_ci_u32_e32 v13, vcc_lo, 0, v14, vcc_lo
	s_delay_alu instid0(VALU_DEP_2) | instskip(NEXT) | instid1(VALU_DEP_2)
	v_add_co_u32 v9, vcc_lo, v12, v9
	v_add_co_ci_u32_e32 v9, vcc_lo, v13, v15, vcc_lo
	v_add_co_ci_u32_e32 v12, vcc_lo, 0, v16, vcc_lo
	s_delay_alu instid0(VALU_DEP_2) | instskip(NEXT) | instid1(VALU_DEP_2)
	v_add_co_u32 v5, vcc_lo, v9, v5
	v_add_co_ci_u32_e32 v9, vcc_lo, 0, v12, vcc_lo
	s_delay_alu instid0(VALU_DEP_2) | instskip(NEXT) | instid1(VALU_DEP_2)
	v_add_co_u32 v3, vcc_lo, v3, v5
	v_add_co_ci_u32_e32 v4, vcc_lo, v4, v9, vcc_lo
	s_delay_alu instid0(VALU_DEP_2) | instskip(SKIP_1) | instid1(VALU_DEP_3)
	v_mul_hi_u32 v5, s2, v3
	v_mul_lo_u32 v12, s26, v3
	v_mul_lo_u32 v9, s2, v4
	s_delay_alu instid0(VALU_DEP_1) | instskip(SKIP_1) | instid1(VALU_DEP_2)
	v_add_nc_u32_e32 v5, v5, v9
	v_mul_lo_u32 v9, s2, v3
	v_add_nc_u32_e32 v5, v5, v12
	s_delay_alu instid0(VALU_DEP_2) | instskip(NEXT) | instid1(VALU_DEP_2)
	v_mul_hi_u32 v12, v3, v9
	v_mul_lo_u32 v13, v3, v5
	v_mul_hi_u32 v14, v3, v5
	v_mul_hi_u32 v15, v4, v9
	v_mul_lo_u32 v9, v4, v9
	v_mul_hi_u32 v16, v4, v5
	v_mul_lo_u32 v5, v4, v5
	v_add_co_u32 v12, vcc_lo, v12, v13
	v_add_co_ci_u32_e32 v13, vcc_lo, 0, v14, vcc_lo
	s_delay_alu instid0(VALU_DEP_2) | instskip(NEXT) | instid1(VALU_DEP_2)
	v_add_co_u32 v9, vcc_lo, v12, v9
	v_add_co_ci_u32_e32 v9, vcc_lo, v13, v15, vcc_lo
	v_add_co_ci_u32_e32 v12, vcc_lo, 0, v16, vcc_lo
	s_delay_alu instid0(VALU_DEP_2) | instskip(NEXT) | instid1(VALU_DEP_2)
	v_add_co_u32 v5, vcc_lo, v9, v5
	v_add_co_ci_u32_e32 v9, vcc_lo, 0, v12, vcc_lo
	s_delay_alu instid0(VALU_DEP_2) | instskip(NEXT) | instid1(VALU_DEP_2)
	v_add_co_u32 v5, vcc_lo, v3, v5
	v_add_co_ci_u32_e32 v9, vcc_lo, v4, v9, vcc_lo
	s_delay_alu instid0(VALU_DEP_2) | instskip(SKIP_1) | instid1(VALU_DEP_3)
	v_mul_hi_u32 v16, v10, v5
	v_mad_u64_u32 v[12:13], null, v11, v5, 0
	v_mad_u64_u32 v[3:4], null, v10, v9, 0
	;; [unrolled: 1-line block ×3, first 2 shown]
	s_delay_alu instid0(VALU_DEP_2) | instskip(NEXT) | instid1(VALU_DEP_3)
	v_add_co_u32 v3, vcc_lo, v16, v3
	v_add_co_ci_u32_e32 v4, vcc_lo, 0, v4, vcc_lo
	s_delay_alu instid0(VALU_DEP_2) | instskip(NEXT) | instid1(VALU_DEP_2)
	v_add_co_u32 v3, vcc_lo, v3, v12
	v_add_co_ci_u32_e32 v3, vcc_lo, v4, v13, vcc_lo
	v_add_co_ci_u32_e32 v4, vcc_lo, 0, v15, vcc_lo
	s_delay_alu instid0(VALU_DEP_2) | instskip(NEXT) | instid1(VALU_DEP_2)
	v_add_co_u32 v5, vcc_lo, v3, v14
	v_add_co_ci_u32_e32 v9, vcc_lo, 0, v4, vcc_lo
	s_delay_alu instid0(VALU_DEP_2) | instskip(SKIP_1) | instid1(VALU_DEP_3)
	v_mul_lo_u32 v12, s25, v5
	v_mad_u64_u32 v[3:4], null, s24, v5, 0
	v_mul_lo_u32 v13, s24, v9
	s_delay_alu instid0(VALU_DEP_2) | instskip(NEXT) | instid1(VALU_DEP_2)
	v_sub_co_u32 v3, vcc_lo, v10, v3
	v_add3_u32 v4, v4, v13, v12
	s_delay_alu instid0(VALU_DEP_1) | instskip(NEXT) | instid1(VALU_DEP_1)
	v_sub_nc_u32_e32 v12, v11, v4
	v_subrev_co_ci_u32_e64 v12, s2, s25, v12, vcc_lo
	v_add_co_u32 v13, s2, v5, 2
	s_delay_alu instid0(VALU_DEP_1) | instskip(SKIP_3) | instid1(VALU_DEP_3)
	v_add_co_ci_u32_e64 v14, s2, 0, v9, s2
	v_sub_co_u32 v15, s2, v3, s24
	v_sub_co_ci_u32_e32 v4, vcc_lo, v11, v4, vcc_lo
	v_subrev_co_ci_u32_e64 v12, s2, 0, v12, s2
	v_cmp_le_u32_e32 vcc_lo, s24, v15
	s_delay_alu instid0(VALU_DEP_3) | instskip(SKIP_1) | instid1(VALU_DEP_4)
	v_cmp_eq_u32_e64 s2, s25, v4
	v_cndmask_b32_e64 v15, 0, -1, vcc_lo
	v_cmp_le_u32_e32 vcc_lo, s25, v12
	v_cndmask_b32_e64 v16, 0, -1, vcc_lo
	v_cmp_le_u32_e32 vcc_lo, s24, v3
	;; [unrolled: 2-line block ×3, first 2 shown]
	v_cndmask_b32_e64 v17, 0, -1, vcc_lo
	v_cmp_eq_u32_e32 vcc_lo, s25, v12
	s_delay_alu instid0(VALU_DEP_2) | instskip(SKIP_3) | instid1(VALU_DEP_3)
	v_cndmask_b32_e64 v3, v17, v3, s2
	v_cndmask_b32_e32 v12, v16, v15, vcc_lo
	v_add_co_u32 v15, vcc_lo, v5, 1
	v_add_co_ci_u32_e32 v16, vcc_lo, 0, v9, vcc_lo
	v_cmp_ne_u32_e32 vcc_lo, 0, v12
	s_delay_alu instid0(VALU_DEP_3) | instskip(NEXT) | instid1(VALU_DEP_3)
	v_cndmask_b32_e32 v12, v15, v13, vcc_lo
	v_cndmask_b32_e32 v4, v16, v14, vcc_lo
	v_cmp_ne_u32_e32 vcc_lo, 0, v3
	s_delay_alu instid0(VALU_DEP_2) | instskip(NEXT) | instid1(VALU_DEP_4)
	v_cndmask_b32_e32 v4, v9, v4, vcc_lo
	v_cndmask_b32_e32 v3, v5, v12, vcc_lo
.LBB0_4:                                ;   in Loop: Header=BB0_2 Depth=1
	s_and_not1_saveexec_b32 s2, s3
	s_cbranch_execz .LBB0_6
; %bb.5:                                ;   in Loop: Header=BB0_2 Depth=1
	v_cvt_f32_u32_e32 v3, s24
	s_sub_i32 s3, 0, s24
	s_delay_alu instid0(VALU_DEP_1) | instskip(SKIP_2) | instid1(VALU_DEP_1)
	v_rcp_iflag_f32_e32 v3, v3
	s_waitcnt_depctr 0xfff
	v_mul_f32_e32 v3, 0x4f7ffffe, v3
	v_cvt_u32_f32_e32 v3, v3
	s_delay_alu instid0(VALU_DEP_1) | instskip(NEXT) | instid1(VALU_DEP_1)
	v_mul_lo_u32 v4, s3, v3
	v_mul_hi_u32 v4, v3, v4
	s_delay_alu instid0(VALU_DEP_1) | instskip(NEXT) | instid1(VALU_DEP_1)
	v_add_nc_u32_e32 v3, v3, v4
	v_mul_hi_u32 v3, v10, v3
	s_delay_alu instid0(VALU_DEP_1) | instskip(SKIP_1) | instid1(VALU_DEP_2)
	v_mul_lo_u32 v4, v3, s24
	v_add_nc_u32_e32 v5, 1, v3
	v_sub_nc_u32_e32 v4, v10, v4
	s_delay_alu instid0(VALU_DEP_1) | instskip(SKIP_1) | instid1(VALU_DEP_2)
	v_subrev_nc_u32_e32 v9, s24, v4
	v_cmp_le_u32_e32 vcc_lo, s24, v4
	v_cndmask_b32_e32 v4, v4, v9, vcc_lo
	v_cndmask_b32_e32 v3, v3, v5, vcc_lo
	s_delay_alu instid0(VALU_DEP_2) | instskip(NEXT) | instid1(VALU_DEP_2)
	v_cmp_le_u32_e32 vcc_lo, s24, v4
	v_dual_mov_b32 v4, v8 :: v_dual_add_nc_u32 v5, 1, v3
	s_delay_alu instid0(VALU_DEP_1)
	v_cndmask_b32_e32 v3, v3, v5, vcc_lo
.LBB0_6:                                ;   in Loop: Header=BB0_2 Depth=1
	s_or_b32 exec_lo, exec_lo, s2
	s_delay_alu instid0(VALU_DEP_2) | instskip(NEXT) | instid1(VALU_DEP_2)
	v_mul_lo_u32 v5, v4, s24
	v_mul_lo_u32 v9, v3, s25
	s_load_b64 s[2:3], s[14:15], 0x0
	v_mad_u64_u32 v[12:13], null, v3, s24, 0
	s_load_b64 s[24:25], s[12:13], 0x0
	s_add_u32 s22, s22, 1
	s_addc_u32 s23, s23, 0
	s_add_u32 s12, s12, 8
	s_addc_u32 s13, s13, 0
	s_add_u32 s14, s14, 8
	s_delay_alu instid0(VALU_DEP_1) | instskip(SKIP_3) | instid1(VALU_DEP_2)
	v_add3_u32 v5, v13, v9, v5
	v_sub_co_u32 v13, vcc_lo, v10, v12
	s_addc_u32 s15, s15, 0
	s_add_u32 s20, s20, 8
	v_sub_co_ci_u32_e32 v5, vcc_lo, v11, v5, vcc_lo
	s_addc_u32 s21, s21, 0
	s_waitcnt lgkmcnt(0)
	s_delay_alu instid0(VALU_DEP_1)
	v_mul_lo_u32 v14, s2, v5
	v_mul_lo_u32 v15, s3, v13
	v_mad_u64_u32 v[9:10], null, s2, v13, v[6:7]
	v_mul_lo_u32 v5, s24, v5
	v_mul_lo_u32 v16, s25, v13
	v_mad_u64_u32 v[11:12], null, s24, v13, v[1:2]
	v_cmp_ge_u64_e64 s2, s[22:23], s[10:11]
	v_add3_u32 v7, v15, v10, v14
	s_delay_alu instid0(VALU_DEP_3) | instskip(NEXT) | instid1(VALU_DEP_4)
	v_dual_mov_b32 v6, v9 :: v_dual_mov_b32 v1, v11
	v_add3_u32 v2, v16, v12, v5
	s_delay_alu instid0(VALU_DEP_4)
	s_and_b32 vcc_lo, exec_lo, s2
	s_cbranch_vccnz .LBB0_9
; %bb.7:                                ;   in Loop: Header=BB0_2 Depth=1
	v_dual_mov_b32 v11, v4 :: v_dual_mov_b32 v10, v3
	s_branch .LBB0_2
.LBB0_8:
	v_dual_mov_b32 v1, v6 :: v_dual_mov_b32 v2, v7
	v_dual_mov_b32 v3, v10 :: v_dual_mov_b32 v4, v11
.LBB0_9:
	s_load_b64 s[0:1], s[0:1], 0x28
	s_lshl_b64 s[10:11], s[10:11], 3
                                        ; implicit-def: $vgpr5
	s_delay_alu instid0(SALU_CYCLE_1) | instskip(SKIP_4) | instid1(VALU_DEP_1)
	s_add_u32 s2, s18, s10
	s_addc_u32 s3, s19, s11
	s_waitcnt lgkmcnt(0)
	v_cmp_gt_u64_e32 vcc_lo, s[0:1], v[3:4]
	v_cmp_le_u64_e64 s0, s[0:1], v[3:4]
	s_and_saveexec_b32 s1, s0
	s_delay_alu instid0(SALU_CYCLE_1)
	s_xor_b32 s0, exec_lo, s1
; %bb.10:
	v_mov_b32_e32 v5, v0
                                        ; implicit-def: $vgpr6_vgpr7
; %bb.11:
	s_or_saveexec_b32 s1, s0
	s_load_b64 s[2:3], s[2:3], 0x0
	v_lshlrev_b32_e32 v8, 2, v0
	s_xor_b32 exec_lo, exec_lo, s1
	s_cbranch_execz .LBB0_15
; %bb.12:
	s_add_u32 s10, s16, s10
	s_addc_u32 s11, s17, s11
	v_add_nc_u32_e32 v19, 0, v8
	s_load_b64 s[10:11], s[10:11], 0x0
	s_waitcnt lgkmcnt(0)
	v_mul_lo_u32 v5, s11, v3
	v_mul_lo_u32 v11, s10, v4
	v_mad_u64_u32 v[9:10], null, s10, v3, 0
	s_delay_alu instid0(VALU_DEP_1) | instskip(SKIP_2) | instid1(VALU_DEP_3)
	v_add3_u32 v10, v10, v11, v5
	v_lshlrev_b64 v[5:6], 2, v[6:7]
	v_or_b32_e32 v11, 0xe00, v8
	v_lshlrev_b64 v[9:10], 2, v[9:10]
	s_delay_alu instid0(VALU_DEP_1) | instskip(NEXT) | instid1(VALU_DEP_1)
	v_add_co_u32 v7, s0, s4, v9
	v_add_co_ci_u32_e64 v9, s0, s5, v10, s0
	s_mov_b32 s4, exec_lo
	s_delay_alu instid0(VALU_DEP_2) | instskip(NEXT) | instid1(VALU_DEP_1)
	v_add_co_u32 v5, s0, v7, v5
	v_add_co_ci_u32_e64 v7, s0, v9, v6, s0
	s_delay_alu instid0(VALU_DEP_2) | instskip(NEXT) | instid1(VALU_DEP_1)
	v_add_co_u32 v9, s0, v5, v8
	v_add_co_ci_u32_e64 v10, s0, 0, v7, s0
	v_add_co_u32 v6, s0, v5, v11
	s_delay_alu instid0(VALU_DEP_1)
	v_add_co_ci_u32_e64 v7, s0, 0, v7, s0
	s_clause 0x7
	global_load_b32 v12, v[9:10], off
	global_load_b32 v13, v[9:10], off offset:512
	global_load_b32 v14, v[9:10], off offset:1024
	;; [unrolled: 1-line block ×6, first 2 shown]
	global_load_b32 v18, v[6:7], off
	v_mov_b32_e32 v5, v0
	v_add_nc_u32_e32 v9, 0, v11
	s_waitcnt vmcnt(6)
	ds_store_2addr_stride64_b32 v19, v12, v13 offset1:2
	s_waitcnt vmcnt(4)
	ds_store_2addr_stride64_b32 v19, v14, v15 offset0:4 offset1:6
	s_waitcnt vmcnt(2)
	ds_store_2addr_stride64_b32 v19, v16, v17 offset0:8 offset1:10
	s_waitcnt vmcnt(1)
	ds_store_b32 v19, v10 offset:3072
	s_waitcnt vmcnt(0)
	ds_store_b32 v9, v18
	v_cmpx_eq_u32_e32 0x7f, v0
	s_cbranch_execz .LBB0_14
; %bb.13:
	global_load_b32 v6, v[6:7], off offset:4
	v_mov_b32_e32 v5, 0x7f
	s_waitcnt vmcnt(0)
	ds_store_b32 v9, v6 offset:4
.LBB0_14:
	s_or_b32 exec_lo, exec_lo, s4
.LBB0_15:
	s_delay_alu instid0(SALU_CYCLE_1)
	s_or_b32 exec_lo, exec_lo, s1
	v_lshlrev_b32_e32 v6, 2, v5
	s_waitcnt lgkmcnt(0)
	s_barrier
	buffer_gl0_inv
	s_mov_b32 s1, exec_lo
	v_add_nc_u32_e32 v9, 0, v6
	v_sub_nc_u32_e32 v10, 0, v6
	ds_load_u16 v6, v9
	ds_load_u16 v7, v10 offset:4096
	s_waitcnt lgkmcnt(0)
	v_add_f16_e32 v12, v7, v6
	v_sub_f16_e32 v11, v6, v7
                                        ; implicit-def: $vgpr6_vgpr7
	v_cmpx_ne_u32_e32 0, v5
	s_xor_b32 s1, exec_lo, s1
	s_cbranch_execz .LBB0_17
; %bb.16:
	v_mov_b32_e32 v6, 0
	s_delay_alu instid0(VALU_DEP_1) | instskip(NEXT) | instid1(VALU_DEP_1)
	v_lshlrev_b64 v[13:14], 2, v[5:6]
	v_add_co_u32 v13, s0, s8, v13
	s_delay_alu instid0(VALU_DEP_1)
	v_add_co_ci_u32_e64 v14, s0, s9, v14, s0
	global_load_b32 v7, v[13:14], off offset:4064
	ds_load_u16 v13, v10 offset:4098
	ds_load_u16 v14, v9 offset:2
	s_waitcnt lgkmcnt(0)
	v_add_f16_e32 v15, v13, v14
	v_sub_f16_e32 v13, v14, v13
	s_waitcnt vmcnt(0)
	v_lshrrev_b32_e32 v16, 16, v7
	s_delay_alu instid0(VALU_DEP_1) | instskip(NEXT) | instid1(VALU_DEP_3)
	v_fma_f16 v14, v11, v16, v12
	v_fma_f16 v17, v15, v16, v13
	v_fma_f16 v12, -v11, v16, v12
	v_fma_f16 v13, v15, v16, -v13
	s_delay_alu instid0(VALU_DEP_4) | instskip(NEXT) | instid1(VALU_DEP_4)
	v_fma_f16 v14, -v7, v15, v14
	v_fmac_f16_e32 v17, v11, v7
	s_delay_alu instid0(VALU_DEP_4) | instskip(NEXT) | instid1(VALU_DEP_4)
	v_fmac_f16_e32 v12, v7, v15
	v_fmac_f16_e32 v13, v11, v7
	v_mov_b32_e32 v7, v6
	v_mov_b32_e32 v6, v5
	v_pack_b32_f16 v11, v14, v17
	s_delay_alu instid0(VALU_DEP_4)
	v_pack_b32_f16 v12, v12, v13
	ds_store_b32 v9, v11
	ds_store_b32 v10, v12 offset:4096
                                        ; implicit-def: $vgpr12
                                        ; implicit-def: $vgpr11
.LBB0_17:
	s_and_not1_saveexec_b32 s0, s1
	s_cbranch_execz .LBB0_19
; %bb.18:
	v_pack_b32_f16 v6, v12, v11
	v_mov_b32_e32 v11, 0
	ds_store_b32 v9, v6
	ds_load_b32 v6, v11 offset:2048
	s_waitcnt lgkmcnt(0)
	v_pk_mul_f16 v12, 0xc0004000, v6
	v_mov_b32_e32 v6, 0
	v_mov_b32_e32 v7, 0
	ds_store_b32 v11, v12 offset:2048
.LBB0_19:
	s_or_b32 exec_lo, exec_lo, s0
	v_lshlrev_b64 v[6:7], 2, v[6:7]
	s_add_u32 s0, s8, 0xfe0
	s_addc_u32 s1, s9, 0
	v_and_b32_e32 v23, 7, v0
	v_and_b32_e32 v0, 63, v0
	s_delay_alu instid0(VALU_DEP_3) | instskip(NEXT) | instid1(VALU_DEP_1)
	v_add_co_u32 v6, s0, s0, v6
	v_add_co_ci_u32_e64 v7, s0, s1, v7, s0
	s_clause 0x2
	global_load_b32 v11, v[6:7], off offset:512
	global_load_b32 v12, v[6:7], off offset:1024
	;; [unrolled: 1-line block ×3, first 2 shown]
	ds_load_b32 v7, v9 offset:512
	ds_load_b32 v13, v10 offset:3584
	s_waitcnt lgkmcnt(1)
	v_lshrrev_b32_e32 v14, 16, v7
	s_waitcnt lgkmcnt(0)
	v_lshrrev_b32_e32 v15, 16, v13
	v_add_f16_e32 v16, v7, v13
	v_sub_f16_e32 v7, v7, v13
	s_delay_alu instid0(VALU_DEP_3) | instskip(SKIP_3) | instid1(VALU_DEP_1)
	v_add_f16_e32 v13, v15, v14
	v_sub_f16_e32 v14, v14, v15
	s_waitcnt vmcnt(2)
	v_lshrrev_b32_e32 v17, 16, v11
	v_fma_f16 v15, v7, v17, v16
	s_delay_alu instid0(VALU_DEP_3) | instskip(SKIP_2) | instid1(VALU_DEP_4)
	v_fma_f16 v18, v13, v17, v14
	v_fma_f16 v16, -v7, v17, v16
	v_fma_f16 v14, v13, v17, -v14
	v_fma_f16 v15, -v11, v13, v15
	s_delay_alu instid0(VALU_DEP_4) | instskip(NEXT) | instid1(VALU_DEP_4)
	v_fmac_f16_e32 v18, v7, v11
	v_fmac_f16_e32 v16, v11, v13
	s_delay_alu instid0(VALU_DEP_4) | instskip(NEXT) | instid1(VALU_DEP_3)
	v_fmac_f16_e32 v14, v7, v11
	v_pack_b32_f16 v7, v15, v18
	s_waitcnt vmcnt(1)
	v_lshrrev_b32_e32 v15, 16, v12
	s_delay_alu instid0(VALU_DEP_3)
	v_pack_b32_f16 v11, v16, v14
	ds_store_b32 v9, v7 offset:512
	ds_store_b32 v10, v11 offset:3584
	ds_load_b32 v7, v9 offset:1024
	ds_load_b32 v11, v10 offset:3072
	s_waitcnt lgkmcnt(1)
	v_lshrrev_b32_e32 v13, 16, v7
	s_waitcnt lgkmcnt(0)
	v_lshrrev_b32_e32 v14, 16, v11
	v_add_f16_e32 v16, v7, v11
	v_sub_f16_e32 v7, v7, v11
	s_delay_alu instid0(VALU_DEP_3) | instskip(SKIP_1) | instid1(VALU_DEP_3)
	v_add_f16_e32 v11, v14, v13
	v_sub_f16_e32 v13, v13, v14
	v_fma_f16 v14, v7, v15, v16
	v_fma_f16 v16, -v7, v15, v16
	s_delay_alu instid0(VALU_DEP_3) | instskip(SKIP_1) | instid1(VALU_DEP_4)
	v_fma_f16 v17, v11, v15, v13
	v_fma_f16 v13, v11, v15, -v13
	v_fma_f16 v14, -v12, v11, v14
	s_delay_alu instid0(VALU_DEP_4) | instskip(NEXT) | instid1(VALU_DEP_4)
	v_fmac_f16_e32 v16, v12, v11
	v_fmac_f16_e32 v17, v7, v12
	s_delay_alu instid0(VALU_DEP_4) | instskip(NEXT) | instid1(VALU_DEP_2)
	v_fmac_f16_e32 v13, v7, v12
	v_pack_b32_f16 v7, v14, v17
	s_delay_alu instid0(VALU_DEP_2)
	v_pack_b32_f16 v11, v16, v13
	ds_store_b32 v9, v7 offset:1024
	ds_store_b32 v10, v11 offset:3072
	ds_load_b32 v7, v9 offset:1536
	ds_load_b32 v11, v10 offset:2560
	s_waitcnt vmcnt(0)
	v_lshrrev_b32_e32 v14, 16, v6
	v_mad_u32_u24 v17, v5, 28, v9
	s_waitcnt lgkmcnt(1)
	v_lshrrev_b32_e32 v12, 16, v7
	s_waitcnt lgkmcnt(0)
	v_lshrrev_b32_e32 v13, 16, v11
	v_add_f16_e32 v15, v7, v11
	v_sub_f16_e32 v7, v7, v11
	s_delay_alu instid0(VALU_DEP_3) | instskip(SKIP_1) | instid1(VALU_DEP_3)
	v_add_f16_e32 v11, v13, v12
	v_sub_f16_e32 v12, v12, v13
	v_fma_f16 v13, v7, v14, v15
	v_fma_f16 v15, -v7, v14, v15
	s_delay_alu instid0(VALU_DEP_3) | instskip(SKIP_1) | instid1(VALU_DEP_4)
	v_fma_f16 v16, v11, v14, v12
	v_fma_f16 v12, v11, v14, -v12
	v_fma_f16 v13, -v6, v11, v13
	s_delay_alu instid0(VALU_DEP_4) | instskip(NEXT) | instid1(VALU_DEP_4)
	v_fmac_f16_e32 v15, v6, v11
	v_fmac_f16_e32 v16, v7, v6
	s_delay_alu instid0(VALU_DEP_4) | instskip(NEXT) | instid1(VALU_DEP_2)
	v_fmac_f16_e32 v12, v7, v6
	v_pack_b32_f16 v6, v13, v16
	s_delay_alu instid0(VALU_DEP_2)
	v_pack_b32_f16 v7, v15, v12
	ds_store_b32 v9, v6 offset:1536
	ds_store_b32 v10, v7 offset:2560
	s_waitcnt lgkmcnt(0)
	s_barrier
	buffer_gl0_inv
	s_barrier
	buffer_gl0_inv
	ds_load_2addr_stride64_b32 v[6:7], v9 offset1:2
	ds_load_2addr_stride64_b32 v[10:11], v9 offset0:4 offset1:6
	ds_load_2addr_stride64_b32 v[12:13], v9 offset0:8 offset1:10
	;; [unrolled: 1-line block ×3, first 2 shown]
	v_mul_u32_u24_e32 v16, 7, v23
	s_waitcnt lgkmcnt(0)
	s_barrier
	buffer_gl0_inv
	v_lshlrev_b32_e32 v16, 2, v16
	v_pk_add_f16 v12, v6, v12 neg_lo:[0,1] neg_hi:[0,1]
	v_pk_add_f16 v14, v10, v14 neg_lo:[0,1] neg_hi:[0,1]
	;; [unrolled: 1-line block ×4, first 2 shown]
	s_delay_alu instid0(VALU_DEP_4) | instskip(NEXT) | instid1(VALU_DEP_4)
	v_lshrrev_b32_e32 v19, 16, v12
	v_lshrrev_b32_e32 v18, 16, v14
	s_delay_alu instid0(VALU_DEP_4) | instskip(NEXT) | instid1(VALU_DEP_4)
	v_lshrrev_b32_e32 v21, 16, v13
	v_lshrrev_b32_e32 v20, 16, v15
	v_pk_fma_f16 v10, v10, 2.0, v14 op_sel_hi:[1,0,1] neg_lo:[0,0,1] neg_hi:[0,0,1]
	v_pk_fma_f16 v11, v11, 2.0, v15 op_sel_hi:[1,0,1] neg_lo:[0,0,1] neg_hi:[0,0,1]
	v_sub_f16_e32 v18, v12, v18
	v_add_f16_e32 v14, v19, v14
	v_sub_f16_e32 v20, v13, v20
	v_add_f16_e32 v15, v21, v15
	v_pk_fma_f16 v6, v6, 2.0, v12 op_sel_hi:[1,0,1] neg_lo:[0,0,1] neg_hi:[0,0,1]
	v_pk_fma_f16 v7, v7, 2.0, v13 op_sel_hi:[1,0,1] neg_lo:[0,0,1] neg_hi:[0,0,1]
	v_fma_f16 v12, v12, 2.0, -v18
	v_fma_f16 v19, v19, 2.0, -v14
	;; [unrolled: 1-line block ×4, first 2 shown]
	v_pk_add_f16 v10, v6, v10 neg_lo:[0,1] neg_hi:[0,1]
	v_pk_add_f16 v11, v7, v11 neg_lo:[0,1] neg_hi:[0,1]
	v_fmamk_f16 v25, v20, 0x39a8, v18
	v_fmamk_f16 v27, v13, 0xb9a8, v12
	;; [unrolled: 1-line block ×3, first 2 shown]
	v_lshrrev_b32_e32 v24, 16, v10
	v_lshrrev_b32_e32 v22, 16, v11
	v_fmamk_f16 v26, v15, 0x39a8, v14
	v_pk_fma_f16 v6, v6, 2.0, v10 op_sel_hi:[1,0,1] neg_lo:[0,0,1] neg_hi:[0,0,1]
	v_pk_fma_f16 v7, v7, 2.0, v11 op_sel_hi:[1,0,1] neg_lo:[0,0,1] neg_hi:[0,0,1]
	v_fmac_f16_e32 v27, 0xb9a8, v21
	v_fmac_f16_e32 v28, 0x39a8, v13
	v_sub_f16_e32 v22, v10, v22
	v_add_f16_e32 v11, v24, v11
	v_fmac_f16_e32 v25, 0xb9a8, v15
	v_fmac_f16_e32 v26, 0x39a8, v20
	v_pk_add_f16 v7, v6, v7 neg_lo:[0,1] neg_hi:[0,1]
	v_fma_f16 v12, v12, 2.0, -v27
	v_fma_f16 v15, v19, 2.0, -v28
	;; [unrolled: 1-line block ×6, first 2 shown]
	v_pk_fma_f16 v6, v6, 2.0, v7 op_sel_hi:[1,0,1] neg_lo:[0,0,1] neg_hi:[0,0,1]
	v_pack_b32_f16 v12, v12, v15
	v_pack_b32_f16 v19, v25, v26
	;; [unrolled: 1-line block ×6, first 2 shown]
	ds_store_2addr_b32 v17, v6, v12 offset1:1
	ds_store_2addr_b32 v17, v10, v13 offset0:2 offset1:3
	ds_store_2addr_b32 v17, v7, v14 offset0:4 offset1:5
	;; [unrolled: 1-line block ×3, first 2 shown]
	s_waitcnt lgkmcnt(0)
	s_barrier
	buffer_gl0_inv
	s_clause 0x1
	global_load_b128 v[10:13], v16, s[8:9]
	global_load_b96 v[14:16], v16, s[8:9] offset:16
	ds_load_2addr_stride64_b32 v[6:7], v9 offset0:12 offset1:14
	ds_load_2addr_stride64_b32 v[17:18], v9 offset1:2
	ds_load_2addr_stride64_b32 v[19:20], v9 offset0:4 offset1:6
	ds_load_2addr_stride64_b32 v[21:22], v9 offset0:8 offset1:10
	v_lshlrev_b32_e32 v24, 3, v5
	s_waitcnt vmcnt(0) lgkmcnt(0)
	s_barrier
	buffer_gl0_inv
	v_and_or_b32 v23, 0x3c0, v24, v23
	v_mul_u32_u24_e32 v24, 3, v0
	s_delay_alu instid0(VALU_DEP_2) | instskip(NEXT) | instid1(VALU_DEP_2)
	v_lshl_add_u32 v23, v23, 2, 0
	v_lshlrev_b32_e32 v24, 2, v24
	v_lshrrev_b32_e32 v25, 16, v7
	v_lshrrev_b32_e32 v26, 16, v18
	;; [unrolled: 1-line block ×15, first 2 shown]
	v_mul_f16_e32 v40, v33, v26
	v_mul_f16_e32 v33, v33, v18
	;; [unrolled: 1-line block ×14, first 2 shown]
	v_fma_f16 v18, v10, v18, -v40
	v_fmac_f16_e32 v33, v10, v26
	v_fma_f16 v10, v11, v19, -v41
	v_fmac_f16_e32 v34, v11, v27
	;; [unrolled: 2-line block ×7, first 2 shown]
	v_sub_f16_e32 v12, v17, v12
	v_sub_f16_e32 v14, v32, v36
	v_sub_f16_e32 v6, v10, v6
	v_sub_f16_e32 v15, v34, v38
	v_sub_f16_e32 v13, v18, v13
	v_sub_f16_e32 v16, v33, v37
	v_sub_f16_e32 v7, v11, v7
	v_sub_f16_e32 v19, v35, v39
	v_fma_f16 v17, v17, 2.0, -v12
	v_fma_f16 v20, v32, 2.0, -v14
	;; [unrolled: 1-line block ×8, first 2 shown]
	v_sub_f16_e32 v15, v12, v15
	v_add_f16_e32 v6, v14, v6
	v_sub_f16_e32 v19, v13, v19
	v_add_f16_e32 v7, v16, v7
	v_sub_f16_e32 v10, v17, v10
	v_sub_f16_e32 v21, v20, v21
	v_fma_f16 v12, v12, 2.0, -v15
	v_fma_f16 v14, v14, 2.0, -v6
	v_sub_f16_e32 v11, v18, v11
	v_sub_f16_e32 v25, v22, v25
	v_fma_f16 v13, v13, 2.0, -v19
	v_fma_f16 v16, v16, 2.0, -v7
	v_fmamk_f16 v26, v19, 0x39a8, v15
	v_fmamk_f16 v27, v7, 0x39a8, v6
	v_fma_f16 v17, v17, 2.0, -v10
	v_fma_f16 v20, v20, 2.0, -v21
	;; [unrolled: 1-line block ×4, first 2 shown]
	v_fmamk_f16 v28, v13, 0xb9a8, v12
	v_fmamk_f16 v29, v16, 0xb9a8, v14
	v_sub_f16_e32 v25, v10, v25
	v_add_f16_e32 v11, v21, v11
	v_fmac_f16_e32 v26, 0xb9a8, v7
	v_fmac_f16_e32 v27, 0x39a8, v19
	v_sub_f16_e32 v7, v17, v18
	v_sub_f16_e32 v18, v20, v22
	v_fmac_f16_e32 v28, 0xb9a8, v16
	v_fmac_f16_e32 v29, 0x39a8, v13
	v_fma_f16 v10, v10, 2.0, -v25
	v_fma_f16 v13, v21, 2.0, -v11
	;; [unrolled: 1-line block ×8, first 2 shown]
	v_pack_b32_f16 v11, v25, v11
	v_pack_b32_f16 v16, v26, v27
	;; [unrolled: 1-line block ×8, first 2 shown]
	ds_store_2addr_b32 v23, v11, v16 offset0:48 offset1:56
	ds_store_2addr_b32 v23, v10, v6 offset0:16 offset1:24
	;; [unrolled: 1-line block ×3, first 2 shown]
	ds_store_2addr_b32 v23, v15, v12 offset1:8
	s_waitcnt lgkmcnt(0)
	s_barrier
	buffer_gl0_inv
	global_load_b96 v[10:12], v24, s[8:9] offset:224
	ds_load_2addr_stride64_b32 v[6:7], v9 offset0:4 offset1:6
	ds_load_2addr_stride64_b32 v[13:14], v9 offset0:8 offset1:10
	;; [unrolled: 1-line block ×3, first 2 shown]
	ds_load_2addr_stride64_b32 v[17:18], v9 offset1:2
	v_lshl_or_b32 v19, v5, 2, 0x200
	v_mul_u32_u24_e32 v20, 3, v5
	v_and_or_b32 v21, 0x100, v8, v0
	s_waitcnt vmcnt(0) lgkmcnt(0)
	s_barrier
	v_and_or_b32 v0, 0x300, v19, v0
	v_lshlrev_b32_e32 v19, 2, v20
	v_lshl_add_u32 v20, v21, 2, 0
	buffer_gl0_inv
	v_lshl_add_u32 v0, v0, 2, 0
	v_lshrrev_b32_e32 v21, 16, v6
	v_lshrrev_b32_e32 v22, 16, v13
	;; [unrolled: 1-line block ×11, first 2 shown]
	s_delay_alu instid0(VALU_DEP_3) | instskip(SKIP_1) | instid1(VALU_DEP_4)
	v_mul_f16_e32 v32, v27, v21
	v_mul_f16_e32 v33, v27, v6
	;; [unrolled: 1-line block ×12, first 2 shown]
	v_fma_f16 v6, v10, v6, -v32
	v_fmac_f16_e32 v33, v10, v21
	v_fma_f16 v13, v11, v13, -v34
	v_fmac_f16_e32 v35, v11, v22
	;; [unrolled: 2-line block ×6, first 2 shown]
	v_sub_f16_e32 v12, v17, v13
	v_sub_f16_e32 v13, v28, v35
	;; [unrolled: 1-line block ×8, first 2 shown]
	v_fma_f16 v17, v17, 2.0, -v12
	v_fma_f16 v22, v28, 2.0, -v13
	;; [unrolled: 1-line block ×8, first 2 shown]
	v_sub_f16_e32 v15, v12, v15
	v_add_f16_e32 v14, v13, v14
	v_sub_f16_e32 v6, v17, v6
	v_sub_f16_e32 v23, v22, v23
	;; [unrolled: 1-line block ×3, first 2 shown]
	v_add_f16_e32 v11, v16, v11
	v_sub_f16_e32 v7, v18, v7
	v_sub_f16_e32 v25, v24, v25
	v_fma_f16 v12, v12, 2.0, -v15
	v_fma_f16 v13, v13, 2.0, -v14
	v_pack_b32_f16 v14, v15, v14
	v_fma_f16 v15, v17, 2.0, -v6
	v_fma_f16 v17, v22, 2.0, -v23
	;; [unrolled: 1-line block ×4, first 2 shown]
	v_pack_b32_f16 v11, v21, v11
	v_fma_f16 v18, v18, 2.0, -v7
	v_fma_f16 v21, v24, 2.0, -v25
	v_pack_b32_f16 v12, v12, v13
	v_pack_b32_f16 v13, v15, v17
	;; [unrolled: 1-line block ×6, first 2 shown]
	ds_store_2addr_stride64_b32 v20, v13, v12 offset1:1
	ds_store_2addr_stride64_b32 v20, v6, v14 offset0:2 offset1:3
	ds_store_2addr_stride64_b32 v0, v15, v10 offset1:1
	ds_store_2addr_stride64_b32 v0, v7, v11 offset0:2 offset1:3
	s_waitcnt lgkmcnt(0)
	s_barrier
	buffer_gl0_inv
	s_clause 0x1
	global_load_b96 v[10:12], v19, s[8:9] offset:992
	global_load_b96 v[13:15], v19, s[8:9] offset:2528
	ds_load_2addr_stride64_b32 v[6:7], v9 offset0:4 offset1:6
	ds_load_2addr_stride64_b32 v[16:17], v9 offset0:8 offset1:10
	ds_load_2addr_stride64_b32 v[18:19], v9 offset0:12 offset1:14
	ds_load_2addr_stride64_b32 v[20:21], v9 offset1:2
	v_add_nc_u32_e32 v0, 0, v8
	ds_load_u16 v8, v9 offset:3586
	s_waitcnt vmcnt(0) lgkmcnt(0)
	s_barrier
	buffer_gl0_inv
	v_lshrrev_b32_e32 v22, 16, v6
	v_lshrrev_b32_e32 v23, 16, v16
	;; [unrolled: 1-line block ×13, first 2 shown]
	v_mul_f16_e32 v35, v29, v22
	v_mul_f16_e32 v29, v29, v6
	;; [unrolled: 1-line block ×12, first 2 shown]
	v_fma_f16 v6, v10, v6, -v35
	v_fmac_f16_e32 v29, v10, v22
	v_fma_f16 v10, v11, v16, -v36
	v_fmac_f16_e32 v30, v11, v23
	;; [unrolled: 2-line block ×6, first 2 shown]
	v_sub_f16_e32 v8, v20, v10
	v_sub_f16_e32 v10, v27, v30
	;; [unrolled: 1-line block ×8, first 2 shown]
	v_fma_f16 v17, v20, 2.0, -v8
	v_fma_f16 v18, v27, 2.0, -v10
	;; [unrolled: 1-line block ×8, first 2 shown]
	v_sub_f16_e32 v14, v8, v14
	v_add_f16_e32 v11, v10, v11
	v_sub_f16_e32 v16, v12, v16
	v_add_f16_e32 v13, v15, v13
	v_sub_f16_e32 v6, v17, v6
	v_sub_f16_e32 v19, v18, v19
	;; [unrolled: 1-line block ×4, first 2 shown]
	v_fma_f16 v8, v8, 2.0, -v14
	v_fma_f16 v10, v10, 2.0, -v11
	;; [unrolled: 1-line block ×4, first 2 shown]
	v_pack_b32_f16 v11, v14, v11
	v_fma_f16 v14, v17, 2.0, -v6
	v_fma_f16 v17, v18, 2.0, -v19
	;; [unrolled: 1-line block ×4, first 2 shown]
	v_pack_b32_f16 v8, v8, v10
	v_pack_b32_f16 v10, v12, v15
	;; [unrolled: 1-line block ×7, first 2 shown]
	ds_store_b32 v9, v11 offset:3072
	ds_store_2addr_stride64_b32 v9, v8, v10 offset0:4 offset1:6
	ds_store_2addr_stride64_b32 v9, v6, v7 offset0:8 offset1:10
	ds_store_2addr_stride64_b32 v9, v12, v14 offset1:2
	ds_store_b32 v0, v13 offset:3584
	s_waitcnt lgkmcnt(0)
	s_barrier
	buffer_gl0_inv
	s_and_saveexec_b32 s0, vcc_lo
	s_cbranch_execz .LBB0_21
; %bb.20:
	v_mul_lo_u32 v0, s3, v3
	v_mul_lo_u32 v4, s2, v4
	v_mad_u64_u32 v[7:8], null, s2, v3, 0
	v_dual_mov_b32 v6, 0 :: v_dual_add_nc_u32 v9, 0x100, v5
	v_add_nc_u32_e32 v17, 0x280, v5
	v_add_nc_u32_e32 v21, 0x300, v5
	;; [unrolled: 1-line block ×3, first 2 shown]
	s_delay_alu instid0(VALU_DEP_4) | instskip(SKIP_4) | instid1(VALU_DEP_4)
	v_lshlrev_b64 v[13:14], 2, v[5:6]
	v_add3_u32 v8, v8, v4, v0
	v_lshlrev_b64 v[0:1], 2, v[1:2]
	v_dual_mov_b32 v3, v6 :: v_dual_add_nc_u32 v2, 0x80, v5
	v_mov_b32_e32 v10, v6
	v_lshlrev_b64 v[7:8], 2, v[7:8]
	v_lshl_add_u32 v4, v5, 2, 0
	v_mov_b32_e32 v16, v6
	v_lshlrev_b64 v[2:3], 2, v[2:3]
	v_mov_b32_e32 v18, v6
	v_mov_b32_e32 v22, v6
	v_add_co_u32 v7, vcc_lo, s6, v7
	v_add_co_ci_u32_e32 v8, vcc_lo, s7, v8, vcc_lo
	ds_load_2addr_stride64_b32 v[11:12], v4 offset1:2
	v_add_co_u32 v25, vcc_lo, v7, v0
	v_add_co_ci_u32_e32 v26, vcc_lo, v8, v1, vcc_lo
	ds_load_2addr_stride64_b32 v[19:20], v4 offset0:8 offset1:10
	v_add_co_u32 v7, vcc_lo, v25, v13
	v_add_co_ci_u32_e32 v8, vcc_lo, v26, v14, vcc_lo
	v_add_nc_u32_e32 v13, 0x180, v5
	v_dual_mov_b32 v14, v6 :: v_dual_add_nc_u32 v5, 0x380, v5
	v_lshlrev_b64 v[0:1], 2, v[9:10]
	v_add_co_u32 v2, vcc_lo, v25, v2
	v_add_co_ci_u32_e32 v3, vcc_lo, v26, v3, vcc_lo
	s_delay_alu instid0(VALU_DEP_4)
	v_lshlrev_b64 v[13:14], 2, v[13:14]
	ds_load_2addr_stride64_b32 v[9:10], v4 offset0:4 offset1:6
	v_add_co_u32 v0, vcc_lo, v25, v0
	v_lshlrev_b64 v[15:16], 2, v[15:16]
	v_add_co_ci_u32_e32 v1, vcc_lo, v26, v1, vcc_lo
	v_add_co_u32 v13, vcc_lo, v25, v13
	v_lshlrev_b64 v[17:18], 2, v[17:18]
	ds_load_2addr_stride64_b32 v[23:24], v4 offset0:12 offset1:14
	v_add_co_ci_u32_e32 v14, vcc_lo, v26, v14, vcc_lo
	v_add_co_u32 v15, vcc_lo, v25, v15
	v_lshlrev_b64 v[21:22], 2, v[21:22]
	v_add_co_ci_u32_e32 v16, vcc_lo, v26, v16, vcc_lo
	v_add_co_u32 v17, vcc_lo, v25, v17
	v_lshlrev_b64 v[4:5], 2, v[5:6]
	v_add_co_ci_u32_e32 v18, vcc_lo, v26, v18, vcc_lo
	v_add_co_u32 v21, vcc_lo, v25, v21
	v_add_co_ci_u32_e32 v22, vcc_lo, v26, v22, vcc_lo
	s_delay_alu instid0(VALU_DEP_4)
	v_add_co_u32 v4, vcc_lo, v25, v4
	v_add_co_ci_u32_e32 v5, vcc_lo, v26, v5, vcc_lo
	s_waitcnt lgkmcnt(3)
	s_clause 0x1
	global_store_b32 v[7:8], v11, off
	global_store_b32 v[2:3], v12, off
	s_waitcnt lgkmcnt(1)
	s_clause 0x3
	global_store_b32 v[0:1], v9, off
	global_store_b32 v[13:14], v10, off
	;; [unrolled: 1-line block ×4, first 2 shown]
	s_waitcnt lgkmcnt(0)
	s_clause 0x1
	global_store_b32 v[21:22], v23, off
	global_store_b32 v[4:5], v24, off
.LBB0_21:
	s_nop 0
	s_sendmsg sendmsg(MSG_DEALLOC_VGPRS)
	s_endpgm
	.section	.rodata,"a",@progbits
	.p2align	6, 0x0
	.amdhsa_kernel fft_rtc_fwd_len1024_factors_8_8_4_4_wgs_128_tpt_128_halfLds_half_op_CI_CI_unitstride_sbrr_C2R_dirReg
		.amdhsa_group_segment_fixed_size 0
		.amdhsa_private_segment_fixed_size 0
		.amdhsa_kernarg_size 104
		.amdhsa_user_sgpr_count 15
		.amdhsa_user_sgpr_dispatch_ptr 0
		.amdhsa_user_sgpr_queue_ptr 0
		.amdhsa_user_sgpr_kernarg_segment_ptr 1
		.amdhsa_user_sgpr_dispatch_id 0
		.amdhsa_user_sgpr_private_segment_size 0
		.amdhsa_wavefront_size32 1
		.amdhsa_uses_dynamic_stack 0
		.amdhsa_enable_private_segment 0
		.amdhsa_system_sgpr_workgroup_id_x 1
		.amdhsa_system_sgpr_workgroup_id_y 0
		.amdhsa_system_sgpr_workgroup_id_z 0
		.amdhsa_system_sgpr_workgroup_info 0
		.amdhsa_system_vgpr_workitem_id 0
		.amdhsa_next_free_vgpr 47
		.amdhsa_next_free_sgpr 27
		.amdhsa_reserve_vcc 1
		.amdhsa_float_round_mode_32 0
		.amdhsa_float_round_mode_16_64 0
		.amdhsa_float_denorm_mode_32 3
		.amdhsa_float_denorm_mode_16_64 3
		.amdhsa_dx10_clamp 1
		.amdhsa_ieee_mode 1
		.amdhsa_fp16_overflow 0
		.amdhsa_workgroup_processor_mode 1
		.amdhsa_memory_ordered 1
		.amdhsa_forward_progress 0
		.amdhsa_shared_vgpr_count 0
		.amdhsa_exception_fp_ieee_invalid_op 0
		.amdhsa_exception_fp_denorm_src 0
		.amdhsa_exception_fp_ieee_div_zero 0
		.amdhsa_exception_fp_ieee_overflow 0
		.amdhsa_exception_fp_ieee_underflow 0
		.amdhsa_exception_fp_ieee_inexact 0
		.amdhsa_exception_int_div_zero 0
	.end_amdhsa_kernel
	.text
.Lfunc_end0:
	.size	fft_rtc_fwd_len1024_factors_8_8_4_4_wgs_128_tpt_128_halfLds_half_op_CI_CI_unitstride_sbrr_C2R_dirReg, .Lfunc_end0-fft_rtc_fwd_len1024_factors_8_8_4_4_wgs_128_tpt_128_halfLds_half_op_CI_CI_unitstride_sbrr_C2R_dirReg
                                        ; -- End function
	.section	.AMDGPU.csdata,"",@progbits
; Kernel info:
; codeLenInByte = 5488
; NumSgprs: 29
; NumVgprs: 47
; ScratchSize: 0
; MemoryBound: 0
; FloatMode: 240
; IeeeMode: 1
; LDSByteSize: 0 bytes/workgroup (compile time only)
; SGPRBlocks: 3
; VGPRBlocks: 5
; NumSGPRsForWavesPerEU: 29
; NumVGPRsForWavesPerEU: 47
; Occupancy: 16
; WaveLimiterHint : 1
; COMPUTE_PGM_RSRC2:SCRATCH_EN: 0
; COMPUTE_PGM_RSRC2:USER_SGPR: 15
; COMPUTE_PGM_RSRC2:TRAP_HANDLER: 0
; COMPUTE_PGM_RSRC2:TGID_X_EN: 1
; COMPUTE_PGM_RSRC2:TGID_Y_EN: 0
; COMPUTE_PGM_RSRC2:TGID_Z_EN: 0
; COMPUTE_PGM_RSRC2:TIDIG_COMP_CNT: 0
	.text
	.p2alignl 7, 3214868480
	.fill 96, 4, 3214868480
	.type	__hip_cuid_79af595ac7d67468,@object ; @__hip_cuid_79af595ac7d67468
	.section	.bss,"aw",@nobits
	.globl	__hip_cuid_79af595ac7d67468
__hip_cuid_79af595ac7d67468:
	.byte	0                               ; 0x0
	.size	__hip_cuid_79af595ac7d67468, 1

	.ident	"AMD clang version 19.0.0git (https://github.com/RadeonOpenCompute/llvm-project roc-6.4.0 25133 c7fe45cf4b819c5991fe208aaa96edf142730f1d)"
	.section	".note.GNU-stack","",@progbits
	.addrsig
	.addrsig_sym __hip_cuid_79af595ac7d67468
	.amdgpu_metadata
---
amdhsa.kernels:
  - .args:
      - .actual_access:  read_only
        .address_space:  global
        .offset:         0
        .size:           8
        .value_kind:     global_buffer
      - .offset:         8
        .size:           8
        .value_kind:     by_value
      - .actual_access:  read_only
        .address_space:  global
        .offset:         16
        .size:           8
        .value_kind:     global_buffer
      - .actual_access:  read_only
        .address_space:  global
        .offset:         24
        .size:           8
        .value_kind:     global_buffer
      - .actual_access:  read_only
        .address_space:  global
        .offset:         32
        .size:           8
        .value_kind:     global_buffer
      - .offset:         40
        .size:           8
        .value_kind:     by_value
      - .actual_access:  read_only
        .address_space:  global
        .offset:         48
        .size:           8
        .value_kind:     global_buffer
      - .actual_access:  read_only
        .address_space:  global
        .offset:         56
        .size:           8
        .value_kind:     global_buffer
      - .offset:         64
        .size:           4
        .value_kind:     by_value
      - .actual_access:  read_only
        .address_space:  global
        .offset:         72
        .size:           8
        .value_kind:     global_buffer
      - .actual_access:  read_only
        .address_space:  global
        .offset:         80
        .size:           8
        .value_kind:     global_buffer
      - .actual_access:  read_only
        .address_space:  global
        .offset:         88
        .size:           8
        .value_kind:     global_buffer
      - .actual_access:  write_only
        .address_space:  global
        .offset:         96
        .size:           8
        .value_kind:     global_buffer
    .group_segment_fixed_size: 0
    .kernarg_segment_align: 8
    .kernarg_segment_size: 104
    .language:       OpenCL C
    .language_version:
      - 2
      - 0
    .max_flat_workgroup_size: 128
    .name:           fft_rtc_fwd_len1024_factors_8_8_4_4_wgs_128_tpt_128_halfLds_half_op_CI_CI_unitstride_sbrr_C2R_dirReg
    .private_segment_fixed_size: 0
    .sgpr_count:     29
    .sgpr_spill_count: 0
    .symbol:         fft_rtc_fwd_len1024_factors_8_8_4_4_wgs_128_tpt_128_halfLds_half_op_CI_CI_unitstride_sbrr_C2R_dirReg.kd
    .uniform_work_group_size: 1
    .uses_dynamic_stack: false
    .vgpr_count:     47
    .vgpr_spill_count: 0
    .wavefront_size: 32
    .workgroup_processor_mode: 1
amdhsa.target:   amdgcn-amd-amdhsa--gfx1100
amdhsa.version:
  - 1
  - 2
...

	.end_amdgpu_metadata
